;; amdgpu-corpus repo=zjin-lcf/HeCBench kind=compiled arch=gfx90a opt=O3
	.text
	.amdgcn_target "amdgcn-amd-amdhsa--gfx90a"
	.amdhsa_code_object_version 6
	.protected	_Z14lstm_inferencePKfS0_S0_S0_S0_S0_Pf ; -- Begin function _Z14lstm_inferencePKfS0_S0_S0_S0_S0_Pf
	.globl	_Z14lstm_inferencePKfS0_S0_S0_S0_S0_Pf
	.p2align	8
	.type	_Z14lstm_inferencePKfS0_S0_S0_S0_S0_Pf,@function
_Z14lstm_inferencePKfS0_S0_S0_S0_S0_Pf: ; @_Z14lstm_inferencePKfS0_S0_S0_S0_S0_Pf
; %bb.0:
	s_load_dword s0, s[4:5], 0x44
	s_waitcnt lgkmcnt(0)
	s_and_b32 s0, s0, 0xffff
	s_mul_i32 s6, s6, s0
	v_add_u32_e32 v0, s6, v0
	s_movk_i32 s0, 0x2000
	v_cmp_gt_i32_e32 vcc, s0, v0
	s_and_saveexec_b64 s[0:1], vcc
	s_cbranch_execz .LBB0_43
; %bb.1:
	s_load_dwordx4 s[0:3], s[4:5], 0x20
	s_load_dwordx8 s[24:31], s[4:5], 0x0
	s_load_dwordx2 s[20:21], s[4:5], 0x30
	s_movk_i32 s4, 0x4e20
	v_mul_lo_u32 v0, v0, s4
	s_waitcnt lgkmcnt(0)
	s_load_dword s4, s[2:3], 0x0
                                        ; implicit-def: $vgpr39 : SGPR spill to VGPR lane
	v_ashrrev_i32_e32 v1, 31, v0
	v_lshlrev_b64 v[2:3], 2, v[0:1]
                                        ; implicit-def: $vgpr38 : SGPR spill to VGPR lane
                                        ; implicit-def: $vgpr37 : SGPR spill to VGPR lane
	v_mov_b32_e32 v4, s21
                                        ; kill: killed $sgpr2_sgpr3
	s_mov_b64 s[2:3], 0
	s_waitcnt lgkmcnt(0)
	v_writelane_b32 v39, s4, 0
	s_load_dwordx16 s[4:19], s[26:27], 0x0
	s_load_dwordx16 s[36:51], s[28:29], 0x0
	v_mov_b32_e32 v9, 0
	s_mov_b32 s35, 0x3f200000
	s_mov_b32 s93, 0xc2ce8ed0
	;; [unrolled: 1-line block ×3, first 2 shown]
	s_waitcnt lgkmcnt(0)
	v_writelane_b32 v39, s36, 1
	v_writelane_b32 v39, s37, 2
	;; [unrolled: 1-line block ×16, first 2 shown]
	s_mov_b64 s[42:43], s[30:31]
	s_mov_b64 s[38:39], s[26:27]
	s_mov_b64 s[40:41], s[28:29]
	s_mov_b64 s[36:37], s[24:25]
	s_load_dwordx4 s[24:27], s[38:39], 0x40
	s_load_dwordx4 s[28:31], s[42:43], 0x40
	;; [unrolled: 1-line block ×4, first 2 shown]
	s_nop 0
	s_load_dword s0, s[0:1], 0x10
	v_mov_b32_e32 v1, s37
	v_add_co_u32_e32 v0, vcc, s36, v2
	s_waitcnt lgkmcnt(0)
	v_writelane_b32 v39, s24, 17
	v_writelane_b32 v39, s25, 18
	;; [unrolled: 1-line block ×4, first 2 shown]
	s_mov_b64 s[24:25], s[40:41]
	s_mov_b64 s[26:27], s[42:43]
	s_load_dwordx16 s[36:51], s[26:27], 0x0
	s_load_dwordx16 s[52:67], s[24:25], 0x40
	v_writelane_b32 v39, s0, 21
	s_load_dwordx16 s[68:83], s[24:25], 0xc0
	v_addc_co_u32_e32 v1, vcc, v1, v3, vcc
	s_waitcnt lgkmcnt(0)
	v_writelane_b32 v39, s52, 22
	v_writelane_b32 v39, s53, 23
	;; [unrolled: 1-line block ×16, first 2 shown]
	s_load_dwordx16 s[52:67], s[24:25], 0x80
	v_add_co_u32_e32 v2, vcc, s20, v2
	v_addc_co_u32_e32 v3, vcc, v4, v3, vcc
	s_waitcnt lgkmcnt(0)
	v_writelane_b32 v39, s52, 38
	v_writelane_b32 v39, s53, 39
	;; [unrolled: 1-line block ×32, first 2 shown]
	s_load_dwordx16 s[68:83], s[24:25], 0x100
	s_load_dwordx16 s[52:67], s[24:25], 0x140
	v_mov_b32_e32 v4, 0xbd5c1c4e
	v_mov_b32_e32 v5, 0x3e088382
	;; [unrolled: 1-line block ×3, first 2 shown]
	s_brev_b32 s95, -2
	s_waitcnt lgkmcnt(0)
	v_writelane_b32 v38, s52, 6
	v_writelane_b32 v38, s53, 7
	;; [unrolled: 1-line block ×58, first 2 shown]
	v_readlane_b32 s52, v39, 38
	v_writelane_b32 v38, s75, 61
	v_writelane_b32 v37, s81, 3
	s_mov_b32 s34, 0xbfb8aa3b
	s_mov_b32 s33, 0x42ce8ed0
	;; [unrolled: 1-line block ×3, first 2 shown]
	v_mov_b32_e32 v7, 0x7f800000
	v_mov_b32_e32 v10, 0
	;; [unrolled: 1-line block ×10, first 2 shown]
	v_readlane_b32 s53, v39, 39
	v_readlane_b32 s54, v39, 40
	;; [unrolled: 1-line block ×15, first 2 shown]
	v_writelane_b32 v38, s76, 62
	v_writelane_b32 v37, s82, 4
	;; [unrolled: 1-line block ×4, first 2 shown]
	s_branch .LBB0_3
.LBB0_2:                                ;   in Loop: Header=BB0_3 Depth=1
	s_or_b64 exec, exec, s[0:1]
	v_readlane_b32 s68, v39, 54
	v_readlane_b32 s70, v39, 56
	;; [unrolled: 1-line block ×3, first 2 shown]
	v_mul_f32_e32 v19, s70, v9
	v_readlane_b32 s14, v38, 32
	v_readlane_b32 s71, v39, 57
	v_fmac_f32_e32 v19, s14, v13
	v_readlane_b32 s72, v39, 58
	v_fmac_f32_e32 v19, s71, v10
	;; [unrolled: 2-line block ×4, first 2 shown]
	v_fmac_f32_e32 v19, s74, v8
	v_add_f32_e32 v19, s46, v19
	v_mul_f32_e32 v24, 0xbfb8aa3b, v19
	v_fma_f32 v26, v19, s34, -v24
	v_rndne_f32_e32 v27, v24
	v_fmac_f32_e32 v26, 0xb2a5705f, v19
	v_sub_f32_e32 v24, v24, v27
	v_add_f32_e32 v24, v24, v26
	v_cvt_i32_f32_e32 v26, v27
	v_exp_f32_e32 v24, v24
	v_cmp_nlt_f32_e32 vcc, s33, v19
	v_readlane_b32 s75, v39, 61
	v_readlane_b32 s15, v38, 33
	v_ldexp_f32 v24, v24, v26
	v_cndmask_b32_e32 v24, 0, v24, vcc
	v_cmp_ngt_f32_e32 vcc, s92, v19
	v_cndmask_b32_e32 v19, v7, v24, vcc
	v_add_f32_e32 v19, 1.0, v19
	v_div_scale_f32 v24, s[0:1], v19, v19, 1.0
	v_rcp_f32_e32 v26, v24
	v_readlane_b32 s76, v39, 62
	v_readlane_b32 s77, v39, 63
	v_readlane_b32 s78, v38, 0
	v_fma_f32 v27, -v24, v26, 1.0
	v_fmac_f32_e32 v26, v27, v26
	v_div_scale_f32 v27, vcc, 1.0, v19, 1.0
	v_mul_f32_e32 v28, v27, v26
	v_fma_f32 v29, -v24, v28, v27
	v_fmac_f32_e32 v28, v29, v26
	v_mul_f32_e32 v29, s75, v9
	v_fmac_f32_e32 v29, s15, v13
	v_fmac_f32_e32 v29, s76, v10
	v_fmac_f32_e32 v29, s77, v11
	v_readlane_b32 s79, v38, 1
	v_fmac_f32_e32 v29, s78, v12
	v_fmac_f32_e32 v29, s79, v8
	v_add_f32_e32 v29, s47, v29
	v_mul_f32_e32 v30, 0xbfb8aa3b, v29
	v_fma_f32 v31, v29, s34, -v30
	v_rndne_f32_e32 v32, v30
	v_fmac_f32_e32 v31, 0xb2a5705f, v29
	v_sub_f32_e32 v30, v30, v32
	v_add_f32_e32 v30, v30, v31
	v_exp_f32_e32 v30, v30
	v_cvt_i32_f32_e32 v31, v32
	v_fma_f32 v24, -v24, v28, v27
	v_div_fmas_f32 v24, v24, v26, v28
	v_cmp_nlt_f32_e32 vcc, s33, v29
	v_ldexp_f32 v26, v30, v31
	v_cndmask_b32_e32 v26, 0, v26, vcc
	v_cmp_ngt_f32_e32 vcc, s92, v29
	v_cndmask_b32_e32 v26, v7, v26, vcc
	v_add_f32_e32 v26, 1.0, v26
	v_div_scale_f32 v27, s[0:1], v26, v26, 1.0
	v_rcp_f32_e32 v28, v27
	v_div_fixup_f32 v19, v24, v19, 1.0
	v_bfi_b32 v21, s95, v21, v16
	v_mul_f32_e32 v19, v19, v21
	v_fma_f32 v21, -v27, v28, 1.0
	v_fmac_f32_e32 v28, v21, v28
	v_div_scale_f32 v21, vcc, 1.0, v26, 1.0
	v_mul_f32_e32 v24, v21, v28
	v_readlane_b32 s80, v38, 2
	v_fma_f32 v29, -v27, v24, v21
	v_readlane_b32 s16, v38, 34
	v_fmac_f32_e32 v24, v29, v28
	v_mul_f32_e32 v29, s80, v9
	v_readlane_b32 s81, v38, 3
	v_fmac_f32_e32 v29, s16, v13
	v_readlane_b32 s82, v38, 4
	v_fmac_f32_e32 v29, s81, v10
	v_readlane_b32 s69, v39, 55
	v_readlane_b32 s83, v38, 5
	v_fmac_f32_e32 v29, s82, v11
	v_fmac_f32_e32 v29, s83, v12
	v_readlane_b32 s68, v38, 54
	v_fmac_f32_e32 v29, s68, v8
	v_add_f32_e32 v29, s48, v29
	v_mul_f32_e32 v30, 0xbfb8aa3b, v29
	v_fma_f32 v31, v29, s34, -v30
	v_rndne_f32_e32 v32, v30
	v_fmac_f32_e32 v31, 0xb2a5705f, v29
	v_sub_f32_e32 v30, v30, v32
	v_add_f32_e32 v30, v30, v31
	v_exp_f32_e32 v30, v30
	v_cvt_i32_f32_e32 v31, v32
	v_fma_f32 v21, -v27, v24, v21
	v_div_fmas_f32 v21, v21, v28, v24
	v_cmp_nlt_f32_e32 vcc, s33, v29
	v_ldexp_f32 v24, v30, v31
	v_cndmask_b32_e32 v24, 0, v24, vcc
	v_cmp_ngt_f32_e32 vcc, s92, v29
	v_cndmask_b32_e32 v24, v7, v24, vcc
	v_add_f32_e32 v24, 1.0, v24
	v_div_scale_f32 v27, s[0:1], v24, v24, 1.0
	v_rcp_f32_e32 v28, v27
	v_div_fixup_f32 v21, v21, v26, 1.0
	v_bfi_b32 v22, s95, v22, v20
	v_mul_f32_e32 v21, v21, v22
	v_fma_f32 v22, -v27, v28, 1.0
	v_fmac_f32_e32 v28, v22, v28
	v_div_scale_f32 v22, vcc, 1.0, v24, 1.0
	v_mul_f32_e32 v26, v22, v28
	v_readlane_b32 s69, v38, 55
	v_fma_f32 v29, -v27, v26, v22
	v_readlane_b32 s17, v38, 35
	v_fmac_f32_e32 v26, v29, v28
	v_mul_f32_e32 v29, s69, v9
	v_readlane_b32 s70, v38, 56
	v_fmac_f32_e32 v29, s17, v13
	v_readlane_b32 s71, v38, 57
	v_fmac_f32_e32 v29, s70, v10
	;; [unrolled: 2-line block ×4, first 2 shown]
	v_fmac_f32_e32 v29, s73, v8
	v_add_f32_e32 v29, s49, v29
	v_mul_f32_e32 v30, 0xbfb8aa3b, v29
	v_fma_f32 v31, v29, s34, -v30
	v_rndne_f32_e32 v32, v30
	v_fmac_f32_e32 v31, 0xb2a5705f, v29
	v_sub_f32_e32 v30, v30, v32
	v_add_f32_e32 v30, v30, v31
	v_exp_f32_e32 v30, v30
	v_cvt_i32_f32_e32 v31, v32
	v_readlane_b32 s74, v38, 60
	v_fma_f32 v22, -v27, v26, v22
	v_readlane_b32 s18, v38, 36
	v_div_fmas_f32 v22, v22, v28, v26
	v_ldexp_f32 v26, v30, v31
	v_cmp_nlt_f32_e32 vcc, s33, v29
	v_mul_f32_e32 v9, s74, v9
	v_readlane_b32 s75, v38, 61
	v_cndmask_b32_e32 v26, 0, v26, vcc
	v_cmp_ngt_f32_e32 vcc, s92, v29
	v_fmac_f32_e32 v9, s18, v13
	v_readlane_b32 s76, v38, 62
	v_cndmask_b32_e32 v26, v7, v26, vcc
	v_fmac_f32_e32 v9, s75, v10
	v_readlane_b32 s77, v38, 63
	v_add_f32_e32 v26, 1.0, v26
	v_fmac_f32_e32 v9, s76, v11
	v_readlane_b32 s78, v37, 0
	v_div_scale_f32 v27, s[0:1], v26, v26, 1.0
	v_fmac_f32_e32 v9, s77, v12
	v_rcp_f32_e32 v28, v27
	v_fmac_f32_e32 v9, s78, v8
	v_add_f32_e32 v8, s50, v9
	v_mul_f32_e32 v9, 0xbfb8aa3b, v8
	v_div_fixup_f32 v22, v22, v24, 1.0
	v_bfi_b32 v17, s95, v17, v25
	v_fma_f32 v10, v8, s34, -v9
	v_rndne_f32_e32 v11, v9
	v_mul_f32_e32 v17, v22, v17
	v_fma_f32 v22, -v27, v28, 1.0
	v_fmac_f32_e32 v10, 0xb2a5705f, v8
	v_sub_f32_e32 v9, v9, v11
	v_fmac_f32_e32 v28, v22, v28
	v_div_scale_f32 v22, vcc, 1.0, v26, 1.0
	v_add_f32_e32 v9, v9, v10
	v_mul_f32_e32 v24, v22, v28
	v_exp_f32_e32 v9, v9
	v_cvt_i32_f32_e32 v10, v11
	v_fma_f32 v29, -v27, v24, v22
	v_fmac_f32_e32 v24, v29, v28
	v_fma_f32 v11, -v27, v24, v22
	v_div_fmas_f32 v11, v11, v28, v24
	v_ldexp_f32 v9, v9, v10
	v_cmp_nlt_f32_e32 vcc, s33, v8
	v_cndmask_b32_e32 v9, 0, v9, vcc
	v_cmp_ngt_f32_e32 vcc, s92, v8
	v_cndmask_b32_e32 v8, v7, v9, vcc
	v_add_f32_e32 v8, 1.0, v8
	v_div_scale_f32 v9, s[0:1], v8, v8, 1.0
	v_rcp_f32_e32 v10, v9
	v_div_fixup_f32 v11, v11, v26, 1.0
	v_bfi_b32 v12, s95, v15, v23
	v_mul_f32_e32 v12, v11, v12
	v_fma_f32 v11, -v9, v10, 1.0
	v_fmac_f32_e32 v10, v11, v10
	v_div_scale_f32 v11, vcc, 1.0, v8, 1.0
	v_mul_f32_e32 v13, v11, v10
	v_fma_f32 v15, -v9, v13, v11
	v_fmac_f32_e32 v13, v15, v10
	v_fma_f32 v9, -v9, v13, v11
	v_div_fmas_f32 v9, v9, v10, v13
	v_div_fixup_f32 v8, v9, v8, 1.0
	v_bfi_b32 v9, s95, v14, v18
	v_readlane_b32 s0, v39, 0
	v_mul_f32_e32 v8, v8, v9
	v_mov_b32_e32 v9, s0
	v_fma_f32 v9, s88, v19, v9
	v_fmac_f32_e32 v9, s89, v21
	v_fmac_f32_e32 v9, s90, v17
	;; [unrolled: 1-line block ×3, first 2 shown]
	v_readlane_b32 s0, v39, 21
	v_mov_b32_e32 v11, s3
	v_add_co_u32_e32 v10, vcc, s2, v2
	s_add_u32 s2, s2, 4
	v_fmac_f32_e32 v9, s0, v8
	v_addc_co_u32_e32 v11, vcc, v3, v11, vcc
	s_addc_u32 s3, s3, 0
	v_readlane_b32 s19, v38, 37
	v_readlane_b32 s79, v37, 1
	;; [unrolled: 1-line block ×6, first 2 shown]
	global_store_dword v[10:11], v9, off
	s_cmp_lg_u32 s2, 0x13880
	v_mov_b32_e32 v9, v19
	v_mov_b32_e32 v10, v21
	;; [unrolled: 1-line block ×8, first 2 shown]
	v_readlane_b32 s5, v38, 23
	v_readlane_b32 s6, v38, 24
	;; [unrolled: 1-line block ×9, first 2 shown]
	s_cbranch_scc0 .LBB0_43
.LBB0_3:                                ; =>This Inner Loop Header: Depth=1
	v_mov_b32_e32 v13, s3
	v_add_co_u32_e32 v18, vcc, s2, v0
	v_addc_co_u32_e32 v19, vcc, v1, v13, vcc
	global_load_dword v13, v[18:19], off
	v_mul_f32_e32 v16, s79, v9
                                        ; implicit-def: $vgpr28
	s_waitcnt vmcnt(0)
	v_fmac_f32_e32 v16, s19, v13
	v_fmac_f32_e32 v16, s80, v10
	v_fmac_f32_e32 v16, s81, v11
	v_fmac_f32_e32 v16, s82, v12
	v_fmac_f32_e32 v16, s83, v8
	v_add_f32_e32 v16, s51, v16
	v_cmp_nlt_f32_e64 s[0:1], |v16|, s35
	s_and_saveexec_b64 s[20:21], s[0:1]
	s_xor_b64 s[0:1], exec, s[20:21]
	s_cbranch_execz .LBB0_5
; %bb.4:                                ;   in Loop: Header=BB0_3 Depth=1
	v_add_f32_e64 v18, |v16|, |v16|
	v_mul_f32_e32 v19, 0x3fb8aa3b, v18
	v_rndne_f32_e32 v20, v19
	s_mov_b32 s4, 0x3fb8aa3b
	v_sub_f32_e32 v23, v19, v20
	v_fma_f32 v19, v18, s4, -v19
	v_fmac_f32_e32 v19, 0x32a5705f, v18
	v_add_f32_e32 v19, v23, v19
	v_cvt_i32_f32_e32 v20, v20
	v_exp_f32_e32 v19, v19
	v_cmp_ngt_f32_e32 vcc, s93, v18
	v_ldexp_f32 v19, v19, v20
	v_cndmask_b32_e32 v19, 0, v19, vcc
	v_cmp_nlt_f32_e32 vcc, s94, v18
	v_cndmask_b32_e32 v18, v7, v19, vcc
	v_add_f32_e32 v18, 1.0, v18
	v_rcp_f32_e32 v18, v18
	v_fma_f32 v28, v18, -2.0, 1.0
.LBB0_5:                                ;   in Loop: Header=BB0_3 Depth=1
	s_andn2_saveexec_b64 s[0:1], s[0:1]
; %bb.6:                                ;   in Loop: Header=BB0_3 Depth=1
	v_mul_f32_e32 v18, v16, v16
	v_mov_b32_e32 v19, 0x3ca908c9
	v_fmac_f32_e32 v19, 0xbbbac73d, v18
	v_fma_f32 v19, v18, v19, v4
	v_fma_f32 v19, v18, v19, v5
	;; [unrolled: 1-line block ×3, first 2 shown]
	v_mul_f32_e64 v19, |v16|, v19
	v_fma_f32 v28, v18, v19, |v16|
; %bb.7:                                ;   in Loop: Header=BB0_3 Depth=1
	s_or_b64 exec, exec, s[0:1]
	v_readlane_b32 s8, v38, 6
	v_mul_f32_e32 v18, s8, v9
	v_readlane_b32 s4, v39, 17
	v_readlane_b32 s9, v38, 7
	v_fmac_f32_e32 v18, s4, v13
	v_readlane_b32 s10, v38, 8
	v_fmac_f32_e32 v18, s9, v10
	;; [unrolled: 2-line block ×4, first 2 shown]
	v_fmac_f32_e32 v18, s12, v8
	v_add_f32_e32 v20, s28, v18
	v_cmp_nlt_f32_e64 s[0:1], |v20|, s35
	v_readlane_b32 s13, v38, 11
	v_readlane_b32 s14, v38, 12
	;; [unrolled: 1-line block ×14, first 2 shown]
                                        ; implicit-def: $vgpr27
	s_and_saveexec_b64 s[20:21], s[0:1]
	s_xor_b64 s[0:1], exec, s[20:21]
	s_cbranch_execz .LBB0_9
; %bb.8:                                ;   in Loop: Header=BB0_3 Depth=1
	v_add_f32_e64 v18, |v20|, |v20|
	v_mul_f32_e32 v19, 0x3fb8aa3b, v18
	v_rndne_f32_e32 v23, v19
	s_mov_b32 s4, 0x3fb8aa3b
	v_sub_f32_e32 v24, v19, v23
	v_fma_f32 v19, v18, s4, -v19
	v_fmac_f32_e32 v19, 0x32a5705f, v18
	v_add_f32_e32 v19, v24, v19
	v_cvt_i32_f32_e32 v23, v23
	v_exp_f32_e32 v19, v19
	v_cmp_ngt_f32_e32 vcc, s93, v18
	v_ldexp_f32 v19, v19, v23
	v_cndmask_b32_e32 v19, 0, v19, vcc
	v_cmp_nlt_f32_e32 vcc, s94, v18
	v_cndmask_b32_e32 v18, v7, v19, vcc
	v_add_f32_e32 v18, 1.0, v18
	v_rcp_f32_e32 v18, v18
	v_fma_f32 v27, v18, -2.0, 1.0
.LBB0_9:                                ;   in Loop: Header=BB0_3 Depth=1
	s_andn2_saveexec_b64 s[0:1], s[0:1]
; %bb.10:                               ;   in Loop: Header=BB0_3 Depth=1
	v_mul_f32_e32 v18, v20, v20
	v_mov_b32_e32 v19, 0x3ca908c9
	v_fmac_f32_e32 v19, 0xbbbac73d, v18
	v_fma_f32 v19, v18, v19, v4
	v_fma_f32 v19, v18, v19, v5
	;; [unrolled: 1-line block ×3, first 2 shown]
	v_mul_f32_e64 v19, |v20|, v19
	v_fma_f32 v27, v18, v19, |v20|
; %bb.11:                               ;   in Loop: Header=BB0_3 Depth=1
	s_or_b64 exec, exec, s[0:1]
	v_readlane_b32 s4, v38, 6
	v_readlane_b32 s5, v38, 7
	;; [unrolled: 1-line block ×6, first 2 shown]
	v_mul_f32_e32 v18, s9, v9
	v_readlane_b32 s5, v39, 18
	v_readlane_b32 s10, v38, 12
	v_fmac_f32_e32 v18, s5, v13
	v_readlane_b32 s11, v38, 13
	v_fmac_f32_e32 v18, s10, v10
	;; [unrolled: 2-line block ×4, first 2 shown]
	v_fmac_f32_e32 v18, s13, v8
	v_add_f32_e32 v25, s29, v18
	v_cmp_nlt_f32_e64 s[0:1], |v25|, s35
	v_readlane_b32 s8, v38, 10
	v_readlane_b32 s14, v38, 16
	v_readlane_b32 s15, v38, 17
	v_readlane_b32 s16, v38, 18
	v_readlane_b32 s17, v38, 19
	v_readlane_b32 s18, v38, 20
	v_readlane_b32 s19, v38, 21
	v_readlane_b32 s6, v39, 19
	v_readlane_b32 s7, v39, 20
                                        ; implicit-def: $vgpr26
	s_and_saveexec_b64 s[20:21], s[0:1]
	s_xor_b64 s[0:1], exec, s[20:21]
	s_cbranch_execz .LBB0_13
; %bb.12:                               ;   in Loop: Header=BB0_3 Depth=1
	v_add_f32_e64 v18, |v25|, |v25|
	v_mul_f32_e32 v19, 0x3fb8aa3b, v18
	v_rndne_f32_e32 v23, v19
	s_mov_b32 s4, 0x3fb8aa3b
	v_sub_f32_e32 v24, v19, v23
	v_fma_f32 v19, v18, s4, -v19
	v_fmac_f32_e32 v19, 0x32a5705f, v18
	v_add_f32_e32 v19, v24, v19
	v_cvt_i32_f32_e32 v23, v23
	v_exp_f32_e32 v19, v19
	v_cmp_ngt_f32_e32 vcc, s93, v18
	v_ldexp_f32 v19, v19, v23
	v_cndmask_b32_e32 v19, 0, v19, vcc
	v_cmp_nlt_f32_e32 vcc, s94, v18
	v_cndmask_b32_e32 v18, v7, v19, vcc
	v_add_f32_e32 v18, 1.0, v18
	v_rcp_f32_e32 v18, v18
	v_fma_f32 v26, v18, -2.0, 1.0
.LBB0_13:                               ;   in Loop: Header=BB0_3 Depth=1
	s_andn2_saveexec_b64 s[0:1], s[0:1]
; %bb.14:                               ;   in Loop: Header=BB0_3 Depth=1
	v_mul_f32_e32 v18, v25, v25
	v_mov_b32_e32 v19, 0x3ca908c9
	v_fmac_f32_e32 v19, 0xbbbac73d, v18
	v_fma_f32 v19, v18, v19, v4
	v_fma_f32 v19, v18, v19, v5
	;; [unrolled: 1-line block ×3, first 2 shown]
	v_mul_f32_e64 v19, |v25|, v19
	v_fma_f32 v26, v18, v19, |v25|
; %bb.15:                               ;   in Loop: Header=BB0_3 Depth=1
	s_or_b64 exec, exec, s[0:1]
	v_readlane_b32 s4, v38, 6
	v_readlane_b32 s5, v38, 7
	;; [unrolled: 1-line block ×6, first 2 shown]
	v_mul_f32_e32 v18, s14, v9
	v_readlane_b32 s6, v39, 19
	v_readlane_b32 s15, v38, 17
	v_fmac_f32_e32 v18, s6, v13
	v_readlane_b32 s16, v38, 18
	v_fmac_f32_e32 v18, s15, v10
	;; [unrolled: 2-line block ×4, first 2 shown]
	v_fmac_f32_e32 v18, s18, v8
	v_add_f32_e32 v23, s30, v18
	v_cmp_nlt_f32_e64 s[0:1], |v23|, s35
	v_readlane_b32 s8, v38, 10
	v_readlane_b32 s9, v38, 11
	;; [unrolled: 1-line block ×9, first 2 shown]
                                        ; implicit-def: $vgpr24
	s_and_saveexec_b64 s[20:21], s[0:1]
	s_xor_b64 s[0:1], exec, s[20:21]
	s_cbranch_execz .LBB0_17
; %bb.16:                               ;   in Loop: Header=BB0_3 Depth=1
	v_add_f32_e64 v18, |v23|, |v23|
	v_mul_f32_e32 v19, 0x3fb8aa3b, v18
	v_rndne_f32_e32 v24, v19
	s_mov_b32 s4, 0x3fb8aa3b
	v_sub_f32_e32 v29, v19, v24
	v_fma_f32 v19, v18, s4, -v19
	v_fmac_f32_e32 v19, 0x32a5705f, v18
	v_add_f32_e32 v19, v29, v19
	v_cvt_i32_f32_e32 v24, v24
	v_exp_f32_e32 v19, v19
	v_cmp_ngt_f32_e32 vcc, s93, v18
	v_ldexp_f32 v19, v19, v24
	v_cndmask_b32_e32 v19, 0, v19, vcc
	v_cmp_nlt_f32_e32 vcc, s94, v18
	v_cndmask_b32_e32 v18, v7, v19, vcc
	v_add_f32_e32 v18, 1.0, v18
	v_rcp_f32_e32 v18, v18
	v_fma_f32 v24, v18, -2.0, 1.0
.LBB0_17:                               ;   in Loop: Header=BB0_3 Depth=1
	s_andn2_saveexec_b64 s[0:1], s[0:1]
; %bb.18:                               ;   in Loop: Header=BB0_3 Depth=1
	v_mul_f32_e32 v18, v23, v23
	v_mov_b32_e32 v19, 0x3ca908c9
	v_fmac_f32_e32 v19, 0xbbbac73d, v18
	v_fma_f32 v19, v18, v19, v4
	v_fma_f32 v19, v18, v19, v5
	;; [unrolled: 1-line block ×3, first 2 shown]
	v_mul_f32_e64 v19, |v23|, v19
	v_fma_f32 v24, v18, v19, |v23|
; %bb.19:                               ;   in Loop: Header=BB0_3 Depth=1
	s_or_b64 exec, exec, s[0:1]
	v_readlane_b32 s4, v38, 6
	v_readlane_b32 s5, v38, 7
	;; [unrolled: 1-line block ×6, first 2 shown]
	v_mul_f32_e32 v18, s19, v9
	v_readlane_b32 s7, v39, 20
	v_fmac_f32_e32 v18, s7, v13
	v_fmac_f32_e32 v18, s84, v10
	;; [unrolled: 1-line block ×5, first 2 shown]
	v_add_f32_e32 v18, s31, v18
	v_cmp_nlt_f32_e64 s[0:1], |v18|, s35
	v_readlane_b32 s8, v38, 10
	v_readlane_b32 s9, v38, 11
	;; [unrolled: 1-line block ×13, first 2 shown]
                                        ; implicit-def: $vgpr19
	s_and_saveexec_b64 s[20:21], s[0:1]
	s_xor_b64 s[0:1], exec, s[20:21]
	s_cbranch_execz .LBB0_21
; %bb.20:                               ;   in Loop: Header=BB0_3 Depth=1
	v_add_f32_e64 v19, |v18|, |v18|
	v_mul_f32_e32 v29, 0x3fb8aa3b, v19
	v_rndne_f32_e32 v30, v29
	s_mov_b32 s4, 0x3fb8aa3b
	v_sub_f32_e32 v31, v29, v30
	v_fma_f32 v29, v19, s4, -v29
	v_fmac_f32_e32 v29, 0x32a5705f, v19
	v_add_f32_e32 v29, v31, v29
	v_cvt_i32_f32_e32 v30, v30
	v_exp_f32_e32 v29, v29
	v_cmp_ngt_f32_e32 vcc, s93, v19
	v_ldexp_f32 v29, v29, v30
	v_cndmask_b32_e32 v29, 0, v29, vcc
	v_cmp_nlt_f32_e32 vcc, s94, v19
	v_cndmask_b32_e32 v19, v7, v29, vcc
	v_add_f32_e32 v19, 1.0, v19
	v_rcp_f32_e32 v19, v19
	v_fma_f32 v19, v19, -2.0, 1.0
.LBB0_21:                               ;   in Loop: Header=BB0_3 Depth=1
	s_andn2_saveexec_b64 s[0:1], s[0:1]
; %bb.22:                               ;   in Loop: Header=BB0_3 Depth=1
	v_mul_f32_e32 v19, v18, v18
	v_mov_b32_e32 v29, 0x3ca908c9
	v_fmac_f32_e32 v29, 0xbbbac73d, v19
	v_fma_f32 v29, v19, v29, v4
	v_fma_f32 v29, v19, v29, v5
	;; [unrolled: 1-line block ×3, first 2 shown]
	v_mul_f32_e64 v29, |v18|, v29
	v_fma_f32 v19, v19, v29, |v18|
; %bb.23:                               ;   in Loop: Header=BB0_3 Depth=1
	s_or_b64 exec, exec, s[0:1]
	v_readlane_b32 s36, v39, 1
	v_mul_f32_e32 v29, s36, v9
	v_readlane_b32 s4, v38, 22
	v_readlane_b32 s37, v39, 2
	v_fmac_f32_e32 v29, s4, v13
	v_readlane_b32 s38, v39, 3
	v_fmac_f32_e32 v29, s37, v10
	v_readlane_b32 s39, v39, 4
	v_fmac_f32_e32 v29, s38, v11
	v_readlane_b32 s40, v39, 5
	v_readlane_b32 s41, v39, 6
	;; [unrolled: 1-line block ×12, first 2 shown]
	v_fmac_f32_e32 v29, s39, v12
	v_fmac_f32_e32 v29, s40, v8
	v_readlane_b32 s36, v38, 38
	v_add_f32_e32 v29, s36, v29
	v_mul_f32_e32 v30, 0xbfb8aa3b, v29
	v_fma_f32 v31, v29, s34, -v30
	v_rndne_f32_e32 v32, v30
	v_fmac_f32_e32 v31, 0xb2a5705f, v29
	v_sub_f32_e32 v30, v30, v32
	v_add_f32_e32 v30, v30, v31
	v_readlane_b32 s12, v38, 30
	v_readlane_b32 s13, v38, 31
	;; [unrolled: 1-line block ×8, first 2 shown]
	v_cvt_i32_f32_e32 v31, v32
	v_exp_f32_e32 v30, v30
	v_readlane_b32 s12, v39, 22
	v_readlane_b32 s21, v39, 31
	;; [unrolled: 1-line block ×3, first 2 shown]
	v_mul_f32_e32 v33, s21, v9
	v_ldexp_f32 v30, v30, v31
	v_cmp_nlt_f32_e32 vcc, s33, v29
	v_readlane_b32 s22, v39, 32
	v_fmac_f32_e32 v33, s9, v13
	v_cndmask_b32_e32 v30, 0, v30, vcc
	v_cmp_ngt_f32_e32 vcc, s92, v29
	v_readlane_b32 s23, v39, 33
	v_fmac_f32_e32 v33, s22, v10
	v_cndmask_b32_e32 v29, v7, v30, vcc
	v_readlane_b32 s24, v39, 34
	v_fmac_f32_e32 v33, s23, v11
	v_add_f32_e32 v29, 1.0, v29
	v_readlane_b32 s25, v39, 35
	v_fmac_f32_e32 v33, s24, v12
	v_readlane_b32 s41, v38, 43
	v_div_scale_f32 v30, s[0:1], v29, v29, 1.0
	v_fmac_f32_e32 v33, s25, v8
	v_rcp_f32_e32 v31, v30
	v_add_f32_e32 v33, s41, v33
	v_mul_f32_e32 v34, 0xbfb8aa3b, v33
	v_fma_f32 v35, v33, s34, -v34
	v_rndne_f32_e32 v36, v34
	v_fmac_f32_e32 v35, 0xb2a5705f, v33
	v_sub_f32_e32 v34, v34, v36
	v_bfi_b32 v16, s95, v28, v16
	v_fma_f32 v28, -v30, v31, 1.0
	v_add_f32_e32 v34, v34, v35
	v_fmac_f32_e32 v31, v28, v31
	v_div_scale_f32 v28, vcc, 1.0, v29, 1.0
	v_exp_f32_e32 v34, v34
	v_cvt_i32_f32_e32 v35, v36
	v_mul_f32_e32 v32, v28, v31
	v_fma_f32 v36, -v30, v32, v28
	v_fmac_f32_e32 v32, v36, v31
	v_fma_f32 v28, -v30, v32, v28
	v_ldexp_f32 v30, v34, v35
	v_cmp_nlt_f32_e64 s[0:1], s33, v33
	v_cndmask_b32_e64 v30, 0, v30, s[0:1]
	v_cmp_ngt_f32_e64 s[0:1], s92, v33
	v_cndmask_b32_e64 v30, v7, v30, s[0:1]
	v_add_f32_e32 v30, 1.0, v30
	v_div_scale_f32 v33, s[0:1], v30, v30, 1.0
	v_rcp_f32_e32 v34, v33
	v_div_fmas_f32 v28, v28, v31, v32
	v_div_fixup_f32 v28, v28, v29, 1.0
	v_mul_f32_e32 v16, v16, v28
	v_fma_f32 v29, -v33, v34, 1.0
	v_fmac_f32_e32 v34, v29, v34
	v_div_scale_f32 v29, vcc, 1.0, v30, 1.0
	v_mul_f32_e32 v31, v29, v34
	v_fma_f32 v32, -v33, v31, v29
	v_fmac_f32_e32 v31, v32, v34
	v_fma_f32 v29, -v33, v31, v29
	v_div_fmas_f32 v29, v29, v34, v31
	v_div_fixup_f32 v29, v29, v30, 1.0
	v_fmac_f32_e32 v16, v21, v29
	v_cmp_nlt_f32_e64 s[0:1], |v16|, s35
	v_readlane_b32 s5, v38, 23
	v_readlane_b32 s6, v38, 24
	;; [unrolled: 1-line block ×30, first 2 shown]
                                        ; implicit-def: $vgpr21
	s_and_saveexec_b64 s[20:21], s[0:1]
	s_xor_b64 s[0:1], exec, s[20:21]
	s_cbranch_execz .LBB0_25
; %bb.24:                               ;   in Loop: Header=BB0_3 Depth=1
	v_add_f32_e64 v21, |v16|, |v16|
	v_mul_f32_e32 v28, 0x3fb8aa3b, v21
	v_rndne_f32_e32 v29, v28
	s_mov_b32 s4, 0x3fb8aa3b
	v_sub_f32_e32 v30, v28, v29
	v_fma_f32 v28, v21, s4, -v28
	v_fmac_f32_e32 v28, 0x32a5705f, v21
	v_add_f32_e32 v28, v30, v28
	v_cvt_i32_f32_e32 v29, v29
	v_exp_f32_e32 v28, v28
	v_cmp_ngt_f32_e32 vcc, s93, v21
	v_ldexp_f32 v28, v28, v29
	v_cndmask_b32_e32 v28, 0, v28, vcc
	v_cmp_nlt_f32_e32 vcc, s94, v21
	v_cndmask_b32_e32 v21, v7, v28, vcc
	v_add_f32_e32 v21, 1.0, v21
	v_rcp_f32_e32 v21, v21
	v_fma_f32 v21, v21, -2.0, 1.0
.LBB0_25:                               ;   in Loop: Header=BB0_3 Depth=1
	s_andn2_saveexec_b64 s[0:1], s[0:1]
; %bb.26:                               ;   in Loop: Header=BB0_3 Depth=1
	v_mul_f32_e32 v21, v16, v16
	v_mov_b32_e32 v28, 0x3ca908c9
	v_fmac_f32_e32 v28, 0xbbbac73d, v21
	v_fma_f32 v28, v21, v28, v4
	v_fma_f32 v28, v21, v28, v5
	;; [unrolled: 1-line block ×3, first 2 shown]
	v_mul_f32_e64 v28, |v16|, v28
	v_fma_f32 v21, v21, v28, |v16|
; %bb.27:                               ;   in Loop: Header=BB0_3 Depth=1
	s_or_b64 exec, exec, s[0:1]
	v_readlane_b32 s36, v39, 1
	v_readlane_b32 s41, v39, 6
	;; [unrolled: 1-line block ×3, first 2 shown]
	v_mul_f32_e32 v28, s41, v9
	v_readlane_b32 s5, v38, 23
	v_readlane_b32 s42, v39, 7
	v_fmac_f32_e32 v28, s5, v13
	v_readlane_b32 s43, v39, 8
	v_fmac_f32_e32 v28, s42, v10
	;; [unrolled: 2-line block ×3, first 2 shown]
	v_readlane_b32 s37, v39, 2
	v_readlane_b32 s38, v39, 3
	;; [unrolled: 1-line block ×11, first 2 shown]
	v_fmac_f32_e32 v28, s44, v12
	v_fmac_f32_e32 v28, s45, v8
	v_readlane_b32 s36, v38, 38
	v_readlane_b32 s37, v38, 39
	v_add_f32_e32 v28, s37, v28
	v_mul_f32_e32 v29, 0xbfb8aa3b, v28
	v_fma_f32 v30, v28, s34, -v29
	v_rndne_f32_e32 v31, v29
	v_fmac_f32_e32 v30, 0xb2a5705f, v28
	v_sub_f32_e32 v29, v29, v31
	v_add_f32_e32 v29, v29, v30
	v_cvt_i32_f32_e32 v30, v31
	v_exp_f32_e32 v29, v29
	v_readlane_b32 s12, v38, 30
	v_readlane_b32 s13, v38, 31
	;; [unrolled: 1-line block ×11, first 2 shown]
	v_ldexp_f32 v29, v29, v30
	v_mul_f32_e32 v30, s26, v9
	v_readlane_b32 s27, v39, 37
	v_fmac_f32_e32 v30, s10, v13
	v_fmac_f32_e32 v30, s27, v10
	;; [unrolled: 1-line block ×4, first 2 shown]
	v_readlane_b32 s42, v38, 44
	v_fmac_f32_e32 v30, s54, v8
	v_add_f32_e32 v30, s42, v30
	v_mul_f32_e32 v31, 0xbfb8aa3b, v30
	v_fma_f32 v32, v30, s34, -v31
	v_rndne_f32_e32 v33, v31
	v_fmac_f32_e32 v32, 0xb2a5705f, v30
	v_sub_f32_e32 v31, v31, v33
	v_add_f32_e32 v31, v31, v32
	v_exp_f32_e32 v31, v31
	v_cvt_i32_f32_e32 v32, v33
	v_cmp_nlt_f32_e32 vcc, s33, v28
	v_cndmask_b32_e32 v29, 0, v29, vcc
	v_cmp_ngt_f32_e32 vcc, s92, v28
	v_cndmask_b32_e32 v28, v7, v29, vcc
	v_add_f32_e32 v28, 1.0, v28
	v_ldexp_f32 v29, v31, v32
	v_div_scale_f32 v31, s[0:1], v28, v28, 1.0
	v_rcp_f32_e32 v32, v31
	v_cmp_nlt_f32_e32 vcc, s33, v30
	v_cndmask_b32_e32 v29, 0, v29, vcc
	v_cmp_ngt_f32_e32 vcc, s92, v30
	v_fma_f32 v30, -v31, v32, 1.0
	v_cndmask_b32_e32 v29, v7, v29, vcc
	v_fmac_f32_e32 v32, v30, v32
	v_div_scale_f32 v30, vcc, 1.0, v28, 1.0
	v_mul_f32_e32 v33, v30, v32
	v_fma_f32 v34, -v31, v33, v30
	v_add_f32_e32 v29, 1.0, v29
	v_fmac_f32_e32 v33, v34, v32
	v_div_scale_f32 v34, s[0:1], v29, v29, 1.0
	v_rcp_f32_e32 v35, v34
	v_fma_f32 v30, -v31, v33, v30
	v_div_fmas_f32 v30, v30, v32, v33
	v_bfi_b32 v20, s95, v27, v20
	v_fma_f32 v31, -v34, v35, 1.0
	v_fmac_f32_e32 v35, v31, v35
	v_div_scale_f32 v31, vcc, 1.0, v29, 1.0
	v_mul_f32_e32 v32, v31, v35
	v_fma_f32 v33, -v34, v32, v31
	v_fmac_f32_e32 v32, v33, v35
	v_fma_f32 v31, -v34, v32, v31
	v_div_fmas_f32 v31, v31, v35, v32
	v_div_fixup_f32 v27, v30, v28, 1.0
	v_div_fixup_f32 v28, v31, v29, 1.0
	v_mul_f32_e32 v20, v20, v27
	v_fmac_f32_e32 v20, v22, v28
	v_cmp_nlt_f32_e64 s[0:1], |v20|, s35
	v_readlane_b32 s6, v38, 24
	v_readlane_b32 s7, v38, 25
	;; [unrolled: 1-line block ×31, first 2 shown]
                                        ; implicit-def: $vgpr22
	s_and_saveexec_b64 s[20:21], s[0:1]
	s_xor_b64 s[0:1], exec, s[20:21]
	s_cbranch_execz .LBB0_29
; %bb.28:                               ;   in Loop: Header=BB0_3 Depth=1
	v_add_f32_e64 v22, |v20|, |v20|
	v_mul_f32_e32 v27, 0x3fb8aa3b, v22
	v_rndne_f32_e32 v28, v27
	s_mov_b32 s4, 0x3fb8aa3b
	v_sub_f32_e32 v29, v27, v28
	v_fma_f32 v27, v22, s4, -v27
	v_fmac_f32_e32 v27, 0x32a5705f, v22
	v_add_f32_e32 v27, v29, v27
	v_cvt_i32_f32_e32 v28, v28
	v_exp_f32_e32 v27, v27
	v_cmp_ngt_f32_e32 vcc, s93, v22
	v_ldexp_f32 v27, v27, v28
	v_cndmask_b32_e32 v27, 0, v27, vcc
	v_cmp_nlt_f32_e32 vcc, s94, v22
	v_cndmask_b32_e32 v22, v7, v27, vcc
	v_add_f32_e32 v22, 1.0, v22
	v_rcp_f32_e32 v22, v22
	v_fma_f32 v22, v22, -2.0, 1.0
.LBB0_29:                               ;   in Loop: Header=BB0_3 Depth=1
	s_andn2_saveexec_b64 s[0:1], s[0:1]
; %bb.30:                               ;   in Loop: Header=BB0_3 Depth=1
	v_mul_f32_e32 v22, v20, v20
	v_mov_b32_e32 v27, 0x3ca908c9
	v_fmac_f32_e32 v27, 0xbbbac73d, v22
	v_fma_f32 v27, v22, v27, v4
	v_fma_f32 v27, v22, v27, v5
	;; [unrolled: 1-line block ×3, first 2 shown]
	v_mul_f32_e64 v27, |v20|, v27
	v_fma_f32 v22, v22, v27, |v20|
; %bb.31:                               ;   in Loop: Header=BB0_3 Depth=1
	s_or_b64 exec, exec, s[0:1]
	v_readlane_b32 s36, v39, 1
	v_readlane_b32 s46, v39, 11
	;; [unrolled: 1-line block ×3, first 2 shown]
	v_mul_f32_e32 v27, s46, v9
	v_readlane_b32 s6, v38, 24
	v_readlane_b32 s47, v39, 12
	v_fmac_f32_e32 v27, s6, v13
	v_readlane_b32 s48, v39, 13
	v_fmac_f32_e32 v27, s47, v10
	;; [unrolled: 2-line block ×3, first 2 shown]
	v_readlane_b32 s37, v39, 2
	v_readlane_b32 s38, v39, 3
	;; [unrolled: 1-line block ×11, first 2 shown]
	v_fmac_f32_e32 v27, s49, v12
	v_fmac_f32_e32 v27, s50, v8
	v_readlane_b32 s36, v38, 38
	v_readlane_b32 s38, v38, 40
	v_add_f32_e32 v27, s38, v27
	v_mul_f32_e32 v28, 0xbfb8aa3b, v27
	v_fma_f32 v29, v27, s34, -v28
	v_rndne_f32_e32 v30, v28
	v_fmac_f32_e32 v29, 0xb2a5705f, v27
	v_sub_f32_e32 v28, v28, v30
	v_add_f32_e32 v28, v28, v29
	v_cvt_i32_f32_e32 v29, v30
	v_exp_f32_e32 v28, v28
	v_readlane_b32 s11, v38, 29
	v_mul_f32_e32 v31, s55, v9
	v_cmp_nlt_f32_e32 vcc, s33, v27
	v_ldexp_f32 v28, v28, v29
	v_fmac_f32_e32 v31, s11, v13
	v_cndmask_b32_e32 v28, 0, v28, vcc
	v_cmp_ngt_f32_e32 vcc, s92, v27
	v_fmac_f32_e32 v31, s56, v10
	v_cndmask_b32_e32 v27, v7, v28, vcc
	v_fmac_f32_e32 v31, s57, v11
	v_add_f32_e32 v27, 1.0, v27
	v_fmac_f32_e32 v31, s58, v12
	v_readlane_b32 s43, v38, 45
	v_div_scale_f32 v28, s[0:1], v27, v27, 1.0
	v_fmac_f32_e32 v31, s59, v8
	v_rcp_f32_e32 v29, v28
	v_add_f32_e32 v31, s43, v31
	v_mul_f32_e32 v32, 0xbfb8aa3b, v31
	v_fma_f32 v33, v31, s34, -v32
	v_rndne_f32_e32 v34, v32
	v_fmac_f32_e32 v33, 0xb2a5705f, v31
	v_sub_f32_e32 v32, v32, v34
	v_bfi_b32 v25, s95, v26, v25
	v_fma_f32 v26, -v28, v29, 1.0
	v_add_f32_e32 v32, v32, v33
	v_fmac_f32_e32 v29, v26, v29
	v_div_scale_f32 v26, vcc, 1.0, v27, 1.0
	v_exp_f32_e32 v32, v32
	v_cvt_i32_f32_e32 v33, v34
	v_mul_f32_e32 v30, v26, v29
	v_fma_f32 v34, -v28, v30, v26
	v_fmac_f32_e32 v30, v34, v29
	v_fma_f32 v26, -v28, v30, v26
	v_ldexp_f32 v28, v32, v33
	v_cmp_nlt_f32_e64 s[0:1], s33, v31
	v_cndmask_b32_e64 v28, 0, v28, s[0:1]
	v_cmp_ngt_f32_e64 s[0:1], s92, v31
	v_cndmask_b32_e64 v28, v7, v28, s[0:1]
	v_add_f32_e32 v28, 1.0, v28
	v_div_scale_f32 v31, s[0:1], v28, v28, 1.0
	v_rcp_f32_e32 v32, v31
	v_div_fmas_f32 v26, v26, v29, v30
	v_div_fixup_f32 v26, v26, v27, 1.0
	v_mul_f32_e32 v25, v25, v26
	v_fma_f32 v27, -v31, v32, 1.0
	v_fmac_f32_e32 v32, v27, v32
	v_div_scale_f32 v27, vcc, 1.0, v28, 1.0
	v_mul_f32_e32 v29, v27, v32
	v_fma_f32 v30, -v31, v29, v27
	v_fmac_f32_e32 v29, v30, v32
	v_fma_f32 v27, -v31, v29, v27
	v_div_fmas_f32 v27, v27, v32, v29
	v_div_fixup_f32 v27, v27, v28, 1.0
	v_fmac_f32_e32 v25, v17, v27
	v_readlane_b32 s39, v38, 41
	v_readlane_b32 s40, v38, 42
	;; [unrolled: 1-line block ×10, first 2 shown]
	v_cmp_nlt_f32_e64 s[0:1], |v25|, s35
	v_readlane_b32 s5, v38, 23
	v_readlane_b32 s7, v38, 25
	;; [unrolled: 1-line block ×16, first 2 shown]
                                        ; implicit-def: $vgpr17
	s_and_saveexec_b64 s[20:21], s[0:1]
	s_xor_b64 s[0:1], exec, s[20:21]
	s_cbranch_execz .LBB0_33
; %bb.32:                               ;   in Loop: Header=BB0_3 Depth=1
	v_add_f32_e64 v17, |v25|, |v25|
	v_mul_f32_e32 v26, 0x3fb8aa3b, v17
	v_rndne_f32_e32 v27, v26
	s_mov_b32 s4, 0x3fb8aa3b
	v_sub_f32_e32 v28, v26, v27
	v_fma_f32 v26, v17, s4, -v26
	v_fmac_f32_e32 v26, 0x32a5705f, v17
	v_add_f32_e32 v26, v28, v26
	v_cvt_i32_f32_e32 v27, v27
	v_exp_f32_e32 v26, v26
	v_cmp_ngt_f32_e32 vcc, s93, v17
	v_ldexp_f32 v26, v26, v27
	v_cndmask_b32_e32 v26, 0, v26, vcc
	v_cmp_nlt_f32_e32 vcc, s94, v17
	v_cndmask_b32_e32 v17, v7, v26, vcc
	v_add_f32_e32 v17, 1.0, v17
	v_rcp_f32_e32 v17, v17
	v_fma_f32 v17, v17, -2.0, 1.0
.LBB0_33:                               ;   in Loop: Header=BB0_3 Depth=1
	s_mov_b64 s[82:83], s[66:67]
	s_mov_b64 s[80:81], s[64:65]
	;; [unrolled: 1-line block ×8, first 2 shown]
	s_andn2_saveexec_b64 s[0:1], s[0:1]
; %bb.34:                               ;   in Loop: Header=BB0_3 Depth=1
	v_mul_f32_e32 v17, v25, v25
	v_mov_b32_e32 v26, 0x3ca908c9
	v_fmac_f32_e32 v26, 0xbbbac73d, v17
	v_fma_f32 v26, v17, v26, v4
	v_fma_f32 v26, v17, v26, v5
	;; [unrolled: 1-line block ×3, first 2 shown]
	v_mul_f32_e64 v26, |v25|, v26
	v_fma_f32 v17, v17, v26, |v25|
; %bb.35:                               ;   in Loop: Header=BB0_3 Depth=1
	s_or_b64 exec, exec, s[0:1]
	v_readlane_b32 s4, v39, 1
	v_readlane_b32 s5, v39, 2
	;; [unrolled: 1-line block ×16, first 2 shown]
	v_mul_f32_e32 v26, s19, v9
	v_readlane_b32 s4, v38, 22
	v_readlane_b32 s7, v38, 25
	v_fmac_f32_e32 v26, s7, v13
	v_readlane_b32 s52, v39, 22
	v_readlane_b32 s53, v39, 23
	v_fmac_f32_e32 v26, s52, v10
	v_readlane_b32 s54, v39, 24
	v_fmac_f32_e32 v26, s53, v11
	;; [unrolled: 2-line block ×3, first 2 shown]
	v_fmac_f32_e32 v26, s55, v8
	v_add_f32_e32 v26, s39, v26
	v_mul_f32_e32 v27, 0xbfb8aa3b, v26
	v_fma_f32 v28, v26, s34, -v27
	v_rndne_f32_e32 v29, v27
	v_fmac_f32_e32 v28, 0xb2a5705f, v26
	v_sub_f32_e32 v27, v27, v29
	v_add_f32_e32 v27, v27, v28
	v_cvt_i32_f32_e32 v28, v29
	v_exp_f32_e32 v27, v27
	v_readlane_b32 s56, v39, 26
	v_readlane_b32 s57, v39, 27
	;; [unrolled: 1-line block ×12, first 2 shown]
	s_mov_b64 s[52:53], s[68:69]
	s_mov_b64 s[60:61], s[76:77]
	v_readlane_b32 s12, v38, 30
	v_ldexp_f32 v27, v27, v28
	v_mul_f32_e32 v28, s60, v9
	v_fmac_f32_e32 v28, s12, v13
	s_mov_b64 s[62:63], s[78:79]
	v_fmac_f32_e32 v28, s61, v10
	v_fmac_f32_e32 v28, s62, v11
	s_mov_b64 s[64:65], s[80:81]
	v_fmac_f32_e32 v28, s63, v12
	v_fmac_f32_e32 v28, s64, v8
	v_add_f32_e32 v28, s44, v28
	v_mul_f32_e32 v29, 0xbfb8aa3b, v28
	v_fma_f32 v30, v28, s34, -v29
	v_rndne_f32_e32 v31, v29
	v_fmac_f32_e32 v30, 0xb2a5705f, v28
	v_sub_f32_e32 v29, v29, v31
	v_add_f32_e32 v29, v29, v30
	v_exp_f32_e32 v29, v29
	v_cvt_i32_f32_e32 v30, v31
	v_cmp_nlt_f32_e32 vcc, s33, v26
	v_cndmask_b32_e32 v27, 0, v27, vcc
	v_cmp_ngt_f32_e32 vcc, s92, v26
	v_cndmask_b32_e32 v26, v7, v27, vcc
	v_add_f32_e32 v26, 1.0, v26
	v_ldexp_f32 v27, v29, v30
	v_div_scale_f32 v29, s[0:1], v26, v26, 1.0
	v_rcp_f32_e32 v30, v29
	v_cmp_nlt_f32_e32 vcc, s33, v28
	v_cndmask_b32_e32 v27, 0, v27, vcc
	v_cmp_ngt_f32_e32 vcc, s92, v28
	v_fma_f32 v28, -v29, v30, 1.0
	v_cndmask_b32_e32 v27, v7, v27, vcc
	v_fmac_f32_e32 v30, v28, v30
	v_div_scale_f32 v28, vcc, 1.0, v26, 1.0
	v_mul_f32_e32 v31, v28, v30
	v_fma_f32 v32, -v29, v31, v28
	v_add_f32_e32 v27, 1.0, v27
	v_fmac_f32_e32 v31, v32, v30
	v_div_scale_f32 v32, s[0:1], v27, v27, 1.0
	v_rcp_f32_e32 v33, v32
	v_fma_f32 v28, -v29, v31, v28
	v_div_fmas_f32 v28, v28, v30, v31
	v_bfi_b32 v23, s95, v24, v23
	v_fma_f32 v29, -v32, v33, 1.0
	v_fmac_f32_e32 v33, v29, v33
	v_div_scale_f32 v29, vcc, 1.0, v27, 1.0
	v_mul_f32_e32 v30, v29, v33
	v_fma_f32 v31, -v32, v30, v29
	v_fmac_f32_e32 v30, v31, v33
	v_fma_f32 v29, -v32, v30, v29
	v_div_fmas_f32 v29, v29, v33, v30
	v_div_fixup_f32 v24, v28, v26, 1.0
	v_div_fixup_f32 v26, v29, v27, 1.0
	v_mul_f32_e32 v23, v23, v24
	v_fmac_f32_e32 v23, v15, v26
	v_cmp_nlt_f32_e64 s[0:1], |v23|, s35
	v_readlane_b32 s5, v38, 23
	v_readlane_b32 s6, v38, 24
	;; [unrolled: 1-line block ×13, first 2 shown]
	s_mov_b64 s[54:55], s[70:71]
	s_mov_b64 s[56:57], s[72:73]
	;; [unrolled: 1-line block ×4, first 2 shown]
                                        ; implicit-def: $vgpr15
	s_and_saveexec_b64 s[20:21], s[0:1]
	s_xor_b64 s[0:1], exec, s[20:21]
	s_cbranch_execz .LBB0_37
; %bb.36:                               ;   in Loop: Header=BB0_3 Depth=1
	v_add_f32_e64 v15, |v23|, |v23|
	v_mul_f32_e32 v24, 0x3fb8aa3b, v15
	v_rndne_f32_e32 v26, v24
	s_mov_b32 s4, 0x3fb8aa3b
	v_sub_f32_e32 v27, v24, v26
	v_fma_f32 v24, v15, s4, -v24
	v_fmac_f32_e32 v24, 0x32a5705f, v15
	v_add_f32_e32 v24, v27, v24
	v_cvt_i32_f32_e32 v26, v26
	v_exp_f32_e32 v24, v24
	v_cmp_ngt_f32_e32 vcc, s93, v15
	v_ldexp_f32 v24, v24, v26
	v_cndmask_b32_e32 v24, 0, v24, vcc
	v_cmp_nlt_f32_e32 vcc, s94, v15
	v_cndmask_b32_e32 v15, v7, v24, vcc
	v_add_f32_e32 v15, 1.0, v15
	v_rcp_f32_e32 v15, v15
	v_fma_f32 v15, v15, -2.0, 1.0
.LBB0_37:                               ;   in Loop: Header=BB0_3 Depth=1
	s_andn2_saveexec_b64 s[0:1], s[0:1]
; %bb.38:                               ;   in Loop: Header=BB0_3 Depth=1
	v_mul_f32_e32 v15, v23, v23
	v_mov_b32_e32 v24, 0x3ca908c9
	v_fmac_f32_e32 v24, 0xbbbac73d, v15
	v_fma_f32 v24, v15, v24, v4
	v_fma_f32 v24, v15, v24, v5
	v_fma_f32 v24, v15, v24, v6
	v_mul_f32_e64 v24, |v23|, v24
	v_fma_f32 v15, v15, v24, |v23|
; %bb.39:                               ;   in Loop: Header=BB0_3 Depth=1
	s_or_b64 exec, exec, s[0:1]
	v_readlane_b32 s52, v39, 22
	v_readlane_b32 s56, v39, 26
	;; [unrolled: 1-line block ×3, first 2 shown]
	v_mul_f32_e32 v24, s56, v9
	v_readlane_b32 s8, v38, 26
	v_readlane_b32 s57, v39, 27
	v_fmac_f32_e32 v24, s8, v13
	v_readlane_b32 s58, v39, 28
	v_fmac_f32_e32 v24, s57, v10
	;; [unrolled: 2-line block ×4, first 2 shown]
	v_fmac_f32_e32 v24, s60, v8
	v_add_f32_e32 v24, s40, v24
	v_mul_f32_e32 v26, 0xbfb8aa3b, v24
	v_fma_f32 v27, v24, s34, -v26
	v_rndne_f32_e32 v28, v26
	v_fmac_f32_e32 v27, 0xb2a5705f, v24
	v_sub_f32_e32 v26, v26, v28
	v_add_f32_e32 v26, v26, v27
	v_cvt_i32_f32_e32 v27, v28
	v_exp_f32_e32 v26, v26
	v_readlane_b32 s53, v39, 23
	v_readlane_b32 s54, v39, 24
	;; [unrolled: 1-line block ×10, first 2 shown]
	s_mov_b64 s[52:53], s[68:69]
	s_mov_b64 s[64:65], s[80:81]
	v_readlane_b32 s13, v38, 31
	v_ldexp_f32 v26, v26, v27
	v_mul_f32_e32 v27, s65, v9
	s_mov_b64 s[66:67], s[82:83]
	v_fmac_f32_e32 v27, s13, v13
	v_readlane_b32 s5, v38, 23
	v_readlane_b32 s6, v38, 24
	;; [unrolled: 1-line block ×13, first 2 shown]
	v_fmac_f32_e32 v27, s66, v10
	v_fmac_f32_e32 v27, s67, v11
	v_readlane_b32 s4, v39, 54
	v_readlane_b32 s5, v39, 55
	v_fmac_f32_e32 v27, s4, v12
	v_fmac_f32_e32 v27, s5, v8
	v_add_f32_e32 v27, s45, v27
	v_mul_f32_e32 v28, 0xbfb8aa3b, v27
	v_fma_f32 v29, v27, s34, -v28
	v_rndne_f32_e32 v30, v28
	v_fmac_f32_e32 v29, 0xb2a5705f, v27
	v_sub_f32_e32 v28, v28, v30
	v_add_f32_e32 v28, v28, v29
	v_exp_f32_e32 v28, v28
	v_cvt_i32_f32_e32 v29, v30
	v_cmp_nlt_f32_e32 vcc, s33, v24
	v_cndmask_b32_e32 v26, 0, v26, vcc
	v_cmp_ngt_f32_e32 vcc, s92, v24
	v_cndmask_b32_e32 v24, v7, v26, vcc
	v_add_f32_e32 v24, 1.0, v24
	v_ldexp_f32 v26, v28, v29
	v_div_scale_f32 v28, s[0:1], v24, v24, 1.0
	v_rcp_f32_e32 v29, v28
	v_cmp_nlt_f32_e32 vcc, s33, v27
	v_cndmask_b32_e32 v26, 0, v26, vcc
	v_cmp_ngt_f32_e32 vcc, s92, v27
	v_fma_f32 v27, -v28, v29, 1.0
	v_cndmask_b32_e32 v26, v7, v26, vcc
	v_fmac_f32_e32 v29, v27, v29
	v_div_scale_f32 v27, vcc, 1.0, v24, 1.0
	v_mul_f32_e32 v30, v27, v29
	v_fma_f32 v31, -v28, v30, v27
	v_add_f32_e32 v26, 1.0, v26
	v_fmac_f32_e32 v30, v31, v29
	v_div_scale_f32 v31, s[0:1], v26, v26, 1.0
	v_rcp_f32_e32 v32, v31
	v_fma_f32 v27, -v28, v30, v27
	v_div_fmas_f32 v27, v27, v29, v30
	v_bfi_b32 v18, s95, v19, v18
	v_fma_f32 v28, -v31, v32, 1.0
	v_fmac_f32_e32 v32, v28, v32
	v_div_scale_f32 v28, vcc, 1.0, v26, 1.0
	v_mul_f32_e32 v29, v28, v32
	v_fma_f32 v30, -v31, v29, v28
	v_fmac_f32_e32 v29, v30, v32
	v_fma_f32 v28, -v31, v29, v28
	v_div_fmas_f32 v28, v28, v32, v29
	v_div_fixup_f32 v19, v27, v24, 1.0
	v_div_fixup_f32 v24, v28, v26, 1.0
	v_mul_f32_e32 v18, v18, v19
	v_fmac_f32_e32 v18, v14, v24
	s_mov_b64 s[54:55], s[70:71]
	s_mov_b64 s[56:57], s[72:73]
	s_mov_b64 s[58:59], s[74:75]
	s_mov_b64 s[60:61], s[76:77]
	s_mov_b64 s[62:63], s[78:79]
	v_cmp_nlt_f32_e64 s[0:1], |v18|, s35
	v_readlane_b32 s6, v39, 56
	v_readlane_b32 s7, v39, 57
	;; [unrolled: 1-line block ×14, first 2 shown]
                                        ; implicit-def: $vgpr14
	s_and_saveexec_b64 s[20:21], s[0:1]
	s_xor_b64 s[0:1], exec, s[20:21]
	s_cbranch_execz .LBB0_41
; %bb.40:                               ;   in Loop: Header=BB0_3 Depth=1
	v_add_f32_e64 v14, |v18|, |v18|
	v_mul_f32_e32 v19, 0x3fb8aa3b, v14
	v_rndne_f32_e32 v24, v19
	s_mov_b32 s4, 0x3fb8aa3b
	v_sub_f32_e32 v26, v19, v24
	v_fma_f32 v19, v14, s4, -v19
	v_fmac_f32_e32 v19, 0x32a5705f, v14
	v_add_f32_e32 v19, v26, v19
	v_cvt_i32_f32_e32 v24, v24
	v_exp_f32_e32 v19, v19
	v_cmp_ngt_f32_e32 vcc, s93, v14
	v_ldexp_f32 v19, v19, v24
	v_cndmask_b32_e32 v19, 0, v19, vcc
	v_cmp_nlt_f32_e32 vcc, s94, v14
	v_cndmask_b32_e32 v14, v7, v19, vcc
	v_add_f32_e32 v14, 1.0, v14
	v_rcp_f32_e32 v14, v14
	v_fma_f32 v14, v14, -2.0, 1.0
.LBB0_41:                               ;   in Loop: Header=BB0_3 Depth=1
	s_andn2_saveexec_b64 s[0:1], s[0:1]
	s_cbranch_execz .LBB0_2
; %bb.42:                               ;   in Loop: Header=BB0_3 Depth=1
	v_mul_f32_e32 v14, v18, v18
	v_mov_b32_e32 v19, 0x3ca908c9
	v_fmac_f32_e32 v19, 0xbbbac73d, v14
	v_fma_f32 v19, v14, v19, v4
	v_fma_f32 v19, v14, v19, v5
	;; [unrolled: 1-line block ×3, first 2 shown]
	v_mul_f32_e64 v19, |v18|, v19
	v_fma_f32 v14, v14, v19, |v18|
	s_branch .LBB0_2
.LBB0_43:
	s_endpgm
	.section	.rodata,"a",@progbits
	.p2align	6, 0x0
	.amdhsa_kernel _Z14lstm_inferencePKfS0_S0_S0_S0_S0_Pf
		.amdhsa_group_segment_fixed_size 0
		.amdhsa_private_segment_fixed_size 0
		.amdhsa_kernarg_size 312
		.amdhsa_user_sgpr_count 6
		.amdhsa_user_sgpr_private_segment_buffer 1
		.amdhsa_user_sgpr_dispatch_ptr 0
		.amdhsa_user_sgpr_queue_ptr 0
		.amdhsa_user_sgpr_kernarg_segment_ptr 1
		.amdhsa_user_sgpr_dispatch_id 0
		.amdhsa_user_sgpr_flat_scratch_init 0
		.amdhsa_user_sgpr_kernarg_preload_length 0
		.amdhsa_user_sgpr_kernarg_preload_offset 0
		.amdhsa_user_sgpr_private_segment_size 0
		.amdhsa_uses_dynamic_stack 0
		.amdhsa_system_sgpr_private_segment_wavefront_offset 0
		.amdhsa_system_sgpr_workgroup_id_x 1
		.amdhsa_system_sgpr_workgroup_id_y 0
		.amdhsa_system_sgpr_workgroup_id_z 0
		.amdhsa_system_sgpr_workgroup_info 0
		.amdhsa_system_vgpr_workitem_id 0
		.amdhsa_next_free_vgpr 40
		.amdhsa_next_free_sgpr 96
		.amdhsa_accum_offset 40
		.amdhsa_reserve_vcc 1
		.amdhsa_reserve_flat_scratch 0
		.amdhsa_float_round_mode_32 0
		.amdhsa_float_round_mode_16_64 0
		.amdhsa_float_denorm_mode_32 3
		.amdhsa_float_denorm_mode_16_64 3
		.amdhsa_dx10_clamp 1
		.amdhsa_ieee_mode 1
		.amdhsa_fp16_overflow 0
		.amdhsa_tg_split 0
		.amdhsa_exception_fp_ieee_invalid_op 0
		.amdhsa_exception_fp_denorm_src 0
		.amdhsa_exception_fp_ieee_div_zero 0
		.amdhsa_exception_fp_ieee_overflow 0
		.amdhsa_exception_fp_ieee_underflow 0
		.amdhsa_exception_fp_ieee_inexact 0
		.amdhsa_exception_int_div_zero 0
	.end_amdhsa_kernel
	.text
.Lfunc_end0:
	.size	_Z14lstm_inferencePKfS0_S0_S0_S0_S0_Pf, .Lfunc_end0-_Z14lstm_inferencePKfS0_S0_S0_S0_S0_Pf
                                        ; -- End function
	.section	.AMDGPU.csdata,"",@progbits
; Kernel info:
; codeLenInByte = 9836
; NumSgprs: 100
; NumVgprs: 40
; NumAgprs: 0
; TotalNumVgprs: 40
; ScratchSize: 0
; MemoryBound: 1
; FloatMode: 240
; IeeeMode: 1
; LDSByteSize: 0 bytes/workgroup (compile time only)
; SGPRBlocks: 12
; VGPRBlocks: 4
; NumSGPRsForWavesPerEU: 100
; NumVGPRsForWavesPerEU: 40
; AccumOffset: 40
; Occupancy: 8
; WaveLimiterHint : 0
; COMPUTE_PGM_RSRC2:SCRATCH_EN: 0
; COMPUTE_PGM_RSRC2:USER_SGPR: 6
; COMPUTE_PGM_RSRC2:TRAP_HANDLER: 0
; COMPUTE_PGM_RSRC2:TGID_X_EN: 1
; COMPUTE_PGM_RSRC2:TGID_Y_EN: 0
; COMPUTE_PGM_RSRC2:TGID_Z_EN: 0
; COMPUTE_PGM_RSRC2:TIDIG_COMP_CNT: 0
; COMPUTE_PGM_RSRC3_GFX90A:ACCUM_OFFSET: 9
; COMPUTE_PGM_RSRC3_GFX90A:TG_SPLIT: 0
	.text
	.p2alignl 6, 3212836864
	.fill 256, 4, 3212836864
	.type	__hip_cuid_2fa3a0a5e75fa67,@object ; @__hip_cuid_2fa3a0a5e75fa67
	.section	.bss,"aw",@nobits
	.globl	__hip_cuid_2fa3a0a5e75fa67
__hip_cuid_2fa3a0a5e75fa67:
	.byte	0                               ; 0x0
	.size	__hip_cuid_2fa3a0a5e75fa67, 1

	.ident	"AMD clang version 19.0.0git (https://github.com/RadeonOpenCompute/llvm-project roc-6.4.0 25133 c7fe45cf4b819c5991fe208aaa96edf142730f1d)"
	.section	".note.GNU-stack","",@progbits
	.addrsig
	.addrsig_sym __hip_cuid_2fa3a0a5e75fa67
	.amdgpu_metadata
---
amdhsa.kernels:
  - .agpr_count:     0
    .args:
      - .actual_access:  read_only
        .address_space:  global
        .offset:         0
        .size:           8
        .value_kind:     global_buffer
      - .actual_access:  read_only
        .address_space:  global
        .offset:         8
        .size:           8
        .value_kind:     global_buffer
      - .actual_access:  read_only
        .address_space:  global
        .offset:         16
        .size:           8
        .value_kind:     global_buffer
      - .actual_access:  read_only
        .address_space:  global
        .offset:         24
        .size:           8
        .value_kind:     global_buffer
      - .actual_access:  read_only
        .address_space:  global
        .offset:         32
        .size:           8
        .value_kind:     global_buffer
      - .actual_access:  read_only
        .address_space:  global
        .offset:         40
        .size:           8
        .value_kind:     global_buffer
      - .actual_access:  write_only
        .address_space:  global
        .offset:         48
        .size:           8
        .value_kind:     global_buffer
      - .offset:         56
        .size:           4
        .value_kind:     hidden_block_count_x
      - .offset:         60
        .size:           4
        .value_kind:     hidden_block_count_y
      - .offset:         64
        .size:           4
        .value_kind:     hidden_block_count_z
      - .offset:         68
        .size:           2
        .value_kind:     hidden_group_size_x
      - .offset:         70
        .size:           2
        .value_kind:     hidden_group_size_y
      - .offset:         72
        .size:           2
        .value_kind:     hidden_group_size_z
      - .offset:         74
        .size:           2
        .value_kind:     hidden_remainder_x
      - .offset:         76
        .size:           2
        .value_kind:     hidden_remainder_y
      - .offset:         78
        .size:           2
        .value_kind:     hidden_remainder_z
      - .offset:         96
        .size:           8
        .value_kind:     hidden_global_offset_x
      - .offset:         104
        .size:           8
        .value_kind:     hidden_global_offset_y
      - .offset:         112
        .size:           8
        .value_kind:     hidden_global_offset_z
      - .offset:         120
        .size:           2
        .value_kind:     hidden_grid_dims
    .group_segment_fixed_size: 0
    .kernarg_segment_align: 8
    .kernarg_segment_size: 312
    .language:       OpenCL C
    .language_version:
      - 2
      - 0
    .max_flat_workgroup_size: 1024
    .name:           _Z14lstm_inferencePKfS0_S0_S0_S0_S0_Pf
    .private_segment_fixed_size: 0
    .sgpr_count:     100
    .sgpr_spill_count: 134
    .symbol:         _Z14lstm_inferencePKfS0_S0_S0_S0_S0_Pf.kd
    .uniform_work_group_size: 1
    .uses_dynamic_stack: false
    .vgpr_count:     40
    .vgpr_spill_count: 0
    .wavefront_size: 64
amdhsa.target:   amdgcn-amd-amdhsa--gfx90a
amdhsa.version:
  - 1
  - 2
...

	.end_amdgpu_metadata
